;; amdgpu-corpus repo=ROCm/rocFFT kind=compiled arch=gfx1030 opt=O3
	.text
	.amdgcn_target "amdgcn-amd-amdhsa--gfx1030"
	.amdhsa_code_object_version 6
	.protected	fft_rtc_back_len900_factors_10_10_3_3_wgs_180_tpt_90_halfLds_half_op_CI_CI_sbrr_dirReg ; -- Begin function fft_rtc_back_len900_factors_10_10_3_3_wgs_180_tpt_90_halfLds_half_op_CI_CI_sbrr_dirReg
	.globl	fft_rtc_back_len900_factors_10_10_3_3_wgs_180_tpt_90_halfLds_half_op_CI_CI_sbrr_dirReg
	.p2align	8
	.type	fft_rtc_back_len900_factors_10_10_3_3_wgs_180_tpt_90_halfLds_half_op_CI_CI_sbrr_dirReg,@function
fft_rtc_back_len900_factors_10_10_3_3_wgs_180_tpt_90_halfLds_half_op_CI_CI_sbrr_dirReg: ; @fft_rtc_back_len900_factors_10_10_3_3_wgs_180_tpt_90_halfLds_half_op_CI_CI_sbrr_dirReg
; %bb.0:
	s_clause 0x2
	s_load_dwordx4 s[16:19], s[4:5], 0x18
	s_load_dwordx4 s[8:11], s[4:5], 0x0
	;; [unrolled: 1-line block ×3, first 2 shown]
	v_mul_u32_u24_e32 v1, 0x2d9, v0
	v_mov_b32_e32 v7, 0
	v_mov_b32_e32 v5, 0
	;; [unrolled: 1-line block ×3, first 2 shown]
	s_waitcnt lgkmcnt(0)
	s_load_dwordx2 s[20:21], s[16:17], 0x0
	s_load_dwordx2 s[2:3], s[18:19], 0x0
	v_lshrrev_b32_e32 v13, 16, v1
	v_cmp_lt_u64_e64 s0, s[10:11], 2
	v_mov_b32_e32 v10, v7
	v_lshl_add_u32 v9, s6, 1, v13
	s_and_b32 vcc_lo, exec_lo, s0
	s_cbranch_vccnz .LBB0_8
; %bb.1:
	s_load_dwordx2 s[0:1], s[4:5], 0x10
	v_mov_b32_e32 v5, 0
	v_mov_b32_e32 v6, 0
	s_add_u32 s6, s18, 8
	s_addc_u32 s7, s19, 0
	v_mov_b32_e32 v1, v5
	s_add_u32 s22, s16, 8
	v_mov_b32_e32 v2, v6
	s_addc_u32 s23, s17, 0
	s_mov_b64 s[26:27], 1
	s_waitcnt lgkmcnt(0)
	s_add_u32 s24, s0, 8
	s_addc_u32 s25, s1, 0
.LBB0_2:                                ; =>This Inner Loop Header: Depth=1
	s_load_dwordx2 s[28:29], s[24:25], 0x0
                                        ; implicit-def: $vgpr3_vgpr4
	s_mov_b32 s0, exec_lo
	s_waitcnt lgkmcnt(0)
	v_or_b32_e32 v8, s29, v10
	v_cmpx_ne_u64_e32 0, v[7:8]
	s_xor_b32 s1, exec_lo, s0
	s_cbranch_execz .LBB0_4
; %bb.3:                                ;   in Loop: Header=BB0_2 Depth=1
	v_cvt_f32_u32_e32 v3, s28
	v_cvt_f32_u32_e32 v4, s29
	s_sub_u32 s0, 0, s28
	s_subb_u32 s30, 0, s29
	v_fmac_f32_e32 v3, 0x4f800000, v4
	v_rcp_f32_e32 v3, v3
	v_mul_f32_e32 v3, 0x5f7ffffc, v3
	v_mul_f32_e32 v4, 0x2f800000, v3
	v_trunc_f32_e32 v4, v4
	v_fmac_f32_e32 v3, 0xcf800000, v4
	v_cvt_u32_f32_e32 v4, v4
	v_cvt_u32_f32_e32 v3, v3
	v_mul_lo_u32 v8, s0, v4
	v_mul_hi_u32 v11, s0, v3
	v_mul_lo_u32 v12, s30, v3
	v_add_nc_u32_e32 v8, v11, v8
	v_mul_lo_u32 v11, s0, v3
	v_add_nc_u32_e32 v8, v8, v12
	v_mul_hi_u32 v12, v3, v11
	v_mul_lo_u32 v14, v3, v8
	v_mul_hi_u32 v15, v3, v8
	v_mul_hi_u32 v16, v4, v11
	v_mul_lo_u32 v11, v4, v11
	v_mul_hi_u32 v17, v4, v8
	v_mul_lo_u32 v8, v4, v8
	v_add_co_u32 v12, vcc_lo, v12, v14
	v_add_co_ci_u32_e32 v14, vcc_lo, 0, v15, vcc_lo
	v_add_co_u32 v11, vcc_lo, v12, v11
	v_add_co_ci_u32_e32 v11, vcc_lo, v14, v16, vcc_lo
	v_add_co_ci_u32_e32 v12, vcc_lo, 0, v17, vcc_lo
	v_add_co_u32 v8, vcc_lo, v11, v8
	v_add_co_ci_u32_e32 v11, vcc_lo, 0, v12, vcc_lo
	v_add_co_u32 v3, vcc_lo, v3, v8
	v_add_co_ci_u32_e32 v4, vcc_lo, v4, v11, vcc_lo
	v_mul_hi_u32 v8, s0, v3
	v_mul_lo_u32 v12, s30, v3
	v_mul_lo_u32 v11, s0, v4
	v_add_nc_u32_e32 v8, v8, v11
	v_mul_lo_u32 v11, s0, v3
	v_add_nc_u32_e32 v8, v8, v12
	v_mul_hi_u32 v12, v3, v11
	v_mul_lo_u32 v14, v3, v8
	v_mul_hi_u32 v15, v3, v8
	v_mul_hi_u32 v16, v4, v11
	v_mul_lo_u32 v11, v4, v11
	v_mul_hi_u32 v17, v4, v8
	v_mul_lo_u32 v8, v4, v8
	v_add_co_u32 v12, vcc_lo, v12, v14
	v_add_co_ci_u32_e32 v14, vcc_lo, 0, v15, vcc_lo
	v_add_co_u32 v11, vcc_lo, v12, v11
	v_add_co_ci_u32_e32 v11, vcc_lo, v14, v16, vcc_lo
	v_add_co_ci_u32_e32 v12, vcc_lo, 0, v17, vcc_lo
	v_add_co_u32 v8, vcc_lo, v11, v8
	v_add_co_ci_u32_e32 v11, vcc_lo, 0, v12, vcc_lo
	v_add_co_u32 v8, vcc_lo, v3, v8
	v_add_co_ci_u32_e32 v14, vcc_lo, v4, v11, vcc_lo
	v_mul_hi_u32 v16, v9, v8
	v_mad_u64_u32 v[11:12], null, v10, v8, 0
	v_mad_u64_u32 v[3:4], null, v9, v14, 0
	;; [unrolled: 1-line block ×3, first 2 shown]
	v_add_co_u32 v3, vcc_lo, v16, v3
	v_add_co_ci_u32_e32 v4, vcc_lo, 0, v4, vcc_lo
	v_add_co_u32 v3, vcc_lo, v3, v11
	v_add_co_ci_u32_e32 v3, vcc_lo, v4, v12, vcc_lo
	v_add_co_ci_u32_e32 v4, vcc_lo, 0, v15, vcc_lo
	v_add_co_u32 v8, vcc_lo, v3, v14
	v_add_co_ci_u32_e32 v11, vcc_lo, 0, v4, vcc_lo
	v_mul_lo_u32 v12, s29, v8
	v_mad_u64_u32 v[3:4], null, s28, v8, 0
	v_mul_lo_u32 v14, s28, v11
	v_sub_co_u32 v3, vcc_lo, v9, v3
	v_add3_u32 v4, v4, v14, v12
	v_sub_nc_u32_e32 v12, v10, v4
	v_subrev_co_ci_u32_e64 v12, s0, s29, v12, vcc_lo
	v_add_co_u32 v14, s0, v8, 2
	v_add_co_ci_u32_e64 v15, s0, 0, v11, s0
	v_sub_co_u32 v16, s0, v3, s28
	v_sub_co_ci_u32_e32 v4, vcc_lo, v10, v4, vcc_lo
	v_subrev_co_ci_u32_e64 v12, s0, 0, v12, s0
	v_cmp_le_u32_e32 vcc_lo, s28, v16
	v_cmp_eq_u32_e64 s0, s29, v4
	v_cndmask_b32_e64 v16, 0, -1, vcc_lo
	v_cmp_le_u32_e32 vcc_lo, s29, v12
	v_cndmask_b32_e64 v17, 0, -1, vcc_lo
	v_cmp_le_u32_e32 vcc_lo, s28, v3
	v_cndmask_b32_e64 v3, 0, -1, vcc_lo
	v_cmp_le_u32_e32 vcc_lo, s29, v4
	v_cndmask_b32_e64 v18, 0, -1, vcc_lo
	v_cmp_eq_u32_e32 vcc_lo, s29, v12
	v_cndmask_b32_e64 v3, v18, v3, s0
	v_cndmask_b32_e32 v12, v17, v16, vcc_lo
	v_add_co_u32 v16, vcc_lo, v8, 1
	v_add_co_ci_u32_e32 v17, vcc_lo, 0, v11, vcc_lo
	v_cmp_ne_u32_e32 vcc_lo, 0, v12
	v_cndmask_b32_e32 v4, v17, v15, vcc_lo
	v_cndmask_b32_e32 v12, v16, v14, vcc_lo
	v_cmp_ne_u32_e32 vcc_lo, 0, v3
	v_cndmask_b32_e32 v4, v11, v4, vcc_lo
	v_cndmask_b32_e32 v3, v8, v12, vcc_lo
.LBB0_4:                                ;   in Loop: Header=BB0_2 Depth=1
	s_andn2_saveexec_b32 s0, s1
	s_cbranch_execz .LBB0_6
; %bb.5:                                ;   in Loop: Header=BB0_2 Depth=1
	v_cvt_f32_u32_e32 v3, s28
	s_sub_i32 s1, 0, s28
	v_rcp_iflag_f32_e32 v3, v3
	v_mul_f32_e32 v3, 0x4f7ffffe, v3
	v_cvt_u32_f32_e32 v3, v3
	v_mul_lo_u32 v4, s1, v3
	v_mul_hi_u32 v4, v3, v4
	v_add_nc_u32_e32 v3, v3, v4
	v_mul_hi_u32 v3, v9, v3
	v_mul_lo_u32 v4, v3, s28
	v_add_nc_u32_e32 v8, 1, v3
	v_sub_nc_u32_e32 v4, v9, v4
	v_subrev_nc_u32_e32 v11, s28, v4
	v_cmp_le_u32_e32 vcc_lo, s28, v4
	v_cndmask_b32_e32 v4, v4, v11, vcc_lo
	v_cndmask_b32_e32 v3, v3, v8, vcc_lo
	v_cmp_le_u32_e32 vcc_lo, s28, v4
	v_add_nc_u32_e32 v8, 1, v3
	v_mov_b32_e32 v4, v7
	v_cndmask_b32_e32 v3, v3, v8, vcc_lo
.LBB0_6:                                ;   in Loop: Header=BB0_2 Depth=1
	s_or_b32 exec_lo, exec_lo, s0
	v_mul_lo_u32 v8, v4, s28
	v_mul_lo_u32 v14, v3, s29
	s_load_dwordx2 s[0:1], s[22:23], 0x0
	v_mad_u64_u32 v[11:12], null, v3, s28, 0
	s_load_dwordx2 s[28:29], s[6:7], 0x0
	s_add_u32 s26, s26, 1
	s_addc_u32 s27, s27, 0
	s_add_u32 s6, s6, 8
	s_addc_u32 s7, s7, 0
	s_add_u32 s22, s22, 8
	v_add3_u32 v8, v12, v14, v8
	v_sub_co_u32 v9, vcc_lo, v9, v11
	s_addc_u32 s23, s23, 0
	s_add_u32 s24, s24, 8
	v_sub_co_ci_u32_e32 v8, vcc_lo, v10, v8, vcc_lo
	s_addc_u32 s25, s25, 0
	s_waitcnt lgkmcnt(0)
	v_mul_lo_u32 v10, s0, v8
	v_mul_lo_u32 v11, s1, v9
	v_mad_u64_u32 v[5:6], null, s0, v9, v[5:6]
	v_mul_lo_u32 v8, s28, v8
	v_mul_lo_u32 v12, s29, v9
	v_mad_u64_u32 v[1:2], null, s28, v9, v[1:2]
	v_cmp_ge_u64_e64 s0, s[26:27], s[10:11]
	v_add3_u32 v6, v11, v6, v10
	v_add3_u32 v2, v12, v2, v8
	s_and_b32 vcc_lo, exec_lo, s0
	s_cbranch_vccnz .LBB0_9
; %bb.7:                                ;   in Loop: Header=BB0_2 Depth=1
	v_mov_b32_e32 v10, v4
	v_mov_b32_e32 v9, v3
	s_branch .LBB0_2
.LBB0_8:
	v_mov_b32_e32 v1, v5
	v_mov_b32_e32 v3, v9
	;; [unrolled: 1-line block ×4, first 2 shown]
.LBB0_9:
	s_load_dwordx2 s[0:1], s[4:5], 0x28
	v_mul_hi_u32 v32, 0x2d82d83, v0
	s_lshl_b64 s[6:7], s[10:11], 3
                                        ; implicit-def: $vgpr9
                                        ; implicit-def: $vgpr11
                                        ; implicit-def: $vgpr12
                                        ; implicit-def: $vgpr10
	s_add_u32 s4, s18, s6
	s_addc_u32 s5, s19, s7
	s_waitcnt lgkmcnt(0)
	v_cmp_gt_u64_e32 vcc_lo, s[0:1], v[3:4]
	v_cmp_le_u64_e64 s0, s[0:1], v[3:4]
	s_and_saveexec_b32 s1, s0
	s_xor_b32 s0, exec_lo, s1
; %bb.10:
	v_mul_u32_u24_e32 v5, 0x5a, v32
                                        ; implicit-def: $vgpr32
	v_sub_nc_u32_e32 v9, v0, v5
                                        ; implicit-def: $vgpr0
                                        ; implicit-def: $vgpr5_vgpr6
	v_add_nc_u32_e32 v11, 0x5a, v9
	v_add_nc_u32_e32 v12, 0xb4, v9
	;; [unrolled: 1-line block ×3, first 2 shown]
; %bb.11:
	s_or_saveexec_b32 s1, s0
                                        ; implicit-def: $vgpr16
                                        ; implicit-def: $vgpr20
                                        ; implicit-def: $vgpr24
                                        ; implicit-def: $vgpr30
                                        ; implicit-def: $vgpr17
                                        ; implicit-def: $vgpr19
                                        ; implicit-def: $vgpr25
                                        ; implicit-def: $vgpr26
                                        ; implicit-def: $vgpr18
                                        ; implicit-def: $vgpr21
                                        ; implicit-def: $vgpr27
                                        ; implicit-def: $vgpr28
                                        ; implicit-def: $vgpr22
                                        ; implicit-def: $vgpr23
                                        ; implicit-def: $vgpr29
                                        ; implicit-def: $vgpr31
                                        ; implicit-def: $vgpr15
                                        ; implicit-def: $vgpr14
                                        ; implicit-def: $vgpr7
                                        ; implicit-def: $vgpr8
	s_xor_b32 exec_lo, exec_lo, s1
	s_cbranch_execz .LBB0_13
; %bb.12:
	s_add_u32 s6, s16, s6
	s_addc_u32 s7, s17, s7
	v_mul_u32_u24_e32 v7, 0x5a, v32
	s_load_dwordx2 s[6:7], s[6:7], 0x0
	v_lshlrev_b64 v[5:6], 2, v[5:6]
	v_sub_nc_u32_e32 v9, v0, v7
	v_mad_u64_u32 v[7:8], null, s20, v9, 0
	v_add_nc_u32_e32 v11, 0x5a, v9
	v_add_nc_u32_e32 v12, 0xb4, v9
	;; [unrolled: 1-line block ×5, first 2 shown]
	v_mad_u64_u32 v[14:15], null, s20, v11, 0
	v_mov_b32_e32 v0, v8
	v_mad_u64_u32 v[16:17], null, s20, v12, 0
	s_waitcnt lgkmcnt(0)
	v_mul_lo_u32 v8, s7, v3
	v_mul_lo_u32 v23, s6, v4
	v_mad_u64_u32 v[18:19], null, s6, v3, 0
	v_mad_u64_u32 v[20:21], null, s21, v9, v[0:1]
	v_mov_b32_e32 v0, v15
	v_mad_u64_u32 v[21:22], null, s20, v10, 0
	v_mov_b32_e32 v15, v17
	v_add3_u32 v19, v19, v23, v8
	v_mad_u64_u32 v[23:24], null, s21, v11, v[0:1]
	v_mad_u64_u32 v[24:25], null, s20, v26, 0
	v_lshlrev_b64 v[17:18], 2, v[18:19]
	v_mov_b32_e32 v8, v20
	v_mad_u64_u32 v[19:20], null, s21, v12, v[15:16]
	v_mov_b32_e32 v0, v22
	v_mov_b32_e32 v15, v23
	v_add_co_u32 v20, s0, s12, v17
	v_add_co_ci_u32_e64 v18, s0, s13, v18, s0
	v_mov_b32_e32 v17, v19
	v_add_co_u32 v38, s0, v20, v5
	v_add_co_ci_u32_e64 v39, s0, v18, v6, s0
	v_lshlrev_b64 v[5:6], 2, v[14:15]
	v_mad_u64_u32 v[14:15], null, s21, v10, v[0:1]
	v_mov_b32_e32 v0, v25
	v_lshlrev_b64 v[15:16], 2, v[16:17]
	v_lshlrev_b64 v[7:8], 2, v[7:8]
	v_add_nc_u32_e32 v36, 0x2d0, v9
	v_mad_u64_u32 v[17:18], null, s21, v26, v[0:1]
	v_mad_u64_u32 v[18:19], null, s20, v27, 0
	v_mov_b32_e32 v22, v14
	v_add_nc_u32_e32 v14, 0x21c, v9
	v_add_co_u32 v7, s0, v38, v7
	v_mov_b32_e32 v25, v17
	v_lshlrev_b64 v[20:21], 2, v[21:22]
	v_mov_b32_e32 v0, v19
	v_add_nc_u32_e32 v17, 0x276, v9
	v_mad_u64_u32 v[22:23], null, s20, v14, 0
	v_mad_u64_u32 v[29:30], null, s20, v36, 0
	;; [unrolled: 1-line block ×4, first 2 shown]
	v_mov_b32_e32 v0, v23
	v_lshlrev_b64 v[23:24], 2, v[24:25]
	v_add_co_ci_u32_e64 v8, s0, v39, v8, s0
	v_mov_b32_e32 v19, v26
	v_mad_u64_u32 v[25:26], null, s21, v14, v[0:1]
	v_mov_b32_e32 v0, v28
	v_add_nc_u32_e32 v14, 0x32a, v9
	v_add_co_u32 v5, s0, v38, v5
	v_add_co_ci_u32_e64 v6, s0, v39, v6, s0
	v_mad_u64_u32 v[31:32], null, s21, v17, v[0:1]
	v_add_co_u32 v15, s0, v38, v15
	v_mad_u64_u32 v[32:33], null, s20, v14, 0
	v_add_co_ci_u32_e64 v16, s0, v39, v16, s0
	v_add_co_u32 v20, s0, v38, v20
	v_mov_b32_e32 v0, v30
	v_add_co_ci_u32_e64 v21, s0, v39, v21, s0
	v_add_co_u32 v34, s0, v38, v23
	v_add_co_ci_u32_e64 v35, s0, v39, v24, s0
	v_mov_b32_e32 v23, v25
	v_mad_u64_u32 v[24:25], null, s21, v36, v[0:1]
	v_mov_b32_e32 v0, v33
	v_lshlrev_b64 v[17:18], 2, v[18:19]
	v_mov_b32_e32 v28, v31
	v_lshlrev_b64 v[22:23], 2, v[22:23]
	v_mad_u64_u32 v[25:26], null, s21, v14, v[0:1]
	v_add_co_u32 v17, s0, v38, v17
	v_lshlrev_b64 v[26:27], 2, v[27:28]
	v_mov_b32_e32 v30, v24
	v_add_co_ci_u32_e64 v18, s0, v39, v18, s0
	v_add_co_u32 v36, s0, v38, v22
	v_mov_b32_e32 v33, v25
	v_add_co_ci_u32_e64 v37, s0, v39, v23, s0
	v_lshlrev_b64 v[22:23], 2, v[29:30]
	v_add_co_u32 v24, s0, v38, v26
	v_add_co_ci_u32_e64 v25, s0, v39, v27, s0
	v_lshlrev_b64 v[26:27], 2, v[32:33]
	v_add_co_u32 v29, s0, v38, v22
	v_add_co_ci_u32_e64 v30, s0, v39, v23, s0
	v_add_co_u32 v32, s0, v38, v26
	v_add_co_ci_u32_e64 v33, s0, v39, v27, s0
	s_clause 0x9
	global_load_dword v8, v[7:8], off
	global_load_dword v14, v[5:6], off
	;; [unrolled: 1-line block ×10, first 2 shown]
	s_waitcnt vmcnt(9)
	v_lshrrev_b32_e32 v7, 16, v8
	s_waitcnt vmcnt(8)
	v_lshrrev_b32_e32 v15, 16, v14
	;; [unrolled: 2-line block ×10, first 2 shown]
.LBB0_13:
	s_or_b32 exec_lo, exec_lo, s1
	v_add_f16_e32 v0, v26, v28
	v_sub_f16_e32 v6, v29, v24
	v_add_f16_e32 v35, v30, v31
	v_add_f16_e32 v5, v31, v8
	v_sub_f16_e32 v32, v27, v25
	v_fma_f16 v0, -0.5, v0, v8
	v_sub_f16_e32 v33, v31, v28
	v_sub_f16_e32 v34, v30, v26
	v_fmac_f16_e32 v8, -0.5, v35
	v_add_f16_e32 v38, v29, v7
	v_fmamk_f16 v36, v6, 0xbb9c, v0
	v_fmac_f16_e32 v0, 0x3b9c, v6
	v_add_f16_e32 v5, v28, v5
	v_add_f16_e32 v33, v34, v33
	v_fmamk_f16 v34, v32, 0x3b9c, v8
	v_fmac_f16_e32 v36, 0xb8b4, v32
	v_fmac_f16_e32 v0, 0x38b4, v32
	v_fmac_f16_e32 v8, 0xbb9c, v32
	v_add_f16_e32 v32, v27, v38
	v_add_f16_e32 v5, v26, v5
	v_sub_f16_e32 v35, v28, v31
	v_sub_f16_e32 v37, v26, v30
	v_add_f16_e32 v39, v25, v27
	v_fmac_f16_e32 v34, 0xb8b4, v6
	v_fmac_f16_e32 v8, 0x38b4, v6
	v_add_f16_e32 v6, v25, v32
	v_add_f16_e32 v32, v24, v29
	;; [unrolled: 1-line block ×3, first 2 shown]
	v_fmac_f16_e32 v36, 0x34f2, v33
	v_add_f16_e32 v35, v37, v35
	v_fma_f16 v37, -0.5, v39, v7
	v_sub_f16_e32 v30, v31, v30
	v_fmac_f16_e32 v0, 0x34f2, v33
	v_sub_f16_e32 v26, v28, v26
	v_sub_f16_e32 v33, v24, v25
	v_fmac_f16_e32 v7, -0.5, v32
	v_add_f16_e32 v6, v24, v6
	v_sub_f16_e32 v24, v25, v24
	v_add_f16_e32 v25, v23, v14
	v_fmamk_f16 v31, v30, 0x3b9c, v37
	v_sub_f16_e32 v28, v29, v27
	v_fmac_f16_e32 v37, 0xbb9c, v30
	v_fmamk_f16 v32, v26, 0xbb9c, v7
	v_sub_f16_e32 v27, v27, v29
	v_fmac_f16_e32 v7, 0x3b9c, v26
	v_add_f16_e32 v25, v21, v25
	v_fmac_f16_e32 v31, 0x38b4, v26
	v_add_f16_e32 v28, v33, v28
	v_fmac_f16_e32 v37, 0xb8b4, v26
	v_fmac_f16_e32 v32, 0x38b4, v30
	v_add_f16_e32 v24, v24, v27
	v_add_f16_e32 v26, v19, v21
	v_fmac_f16_e32 v7, 0xb8b4, v30
	v_add_f16_e32 v25, v19, v25
	v_add_f16_e32 v27, v20, v23
	v_fmac_f16_e32 v31, 0x34f2, v28
	v_fmac_f16_e32 v37, 0x34f2, v28
	;; [unrolled: 1-line block ×3, first 2 shown]
	v_fma_f16 v26, -0.5, v26, v14
	v_sub_f16_e32 v28, v22, v16
	v_fmac_f16_e32 v7, 0x34f2, v24
	v_add_f16_e32 v24, v20, v25
	v_sub_f16_e32 v25, v18, v17
	v_fmac_f16_e32 v14, -0.5, v27
	v_fmamk_f16 v27, v28, 0xbb9c, v26
	v_fmac_f16_e32 v26, 0x3b9c, v28
	v_fmac_f16_e32 v34, 0x34f2, v35
	;; [unrolled: 1-line block ×3, first 2 shown]
	v_fmamk_f16 v33, v25, 0x3b9c, v14
	v_fmac_f16_e32 v14, 0xbb9c, v25
	v_sub_f16_e32 v29, v23, v21
	v_sub_f16_e32 v30, v20, v19
	;; [unrolled: 1-line block ×4, first 2 shown]
	v_fmac_f16_e32 v27, 0xb8b4, v25
	v_fmac_f16_e32 v26, 0x38b4, v25
	;; [unrolled: 1-line block ×3, first 2 shown]
	v_add_f16_e32 v25, v17, v18
	v_fmac_f16_e32 v14, 0x38b4, v28
	v_add_f16_e32 v28, v16, v22
	v_add_f16_e32 v29, v30, v29
	v_add_f16_e32 v30, v38, v35
	v_fma_f16 v25, -0.5, v25, v15
	v_sub_f16_e32 v20, v23, v20
	v_add_f16_e32 v23, v22, v15
	v_sub_f16_e32 v19, v21, v19
	v_fmac_f16_e32 v15, -0.5, v28
	v_fmac_f16_e32 v27, 0x34f2, v29
	v_fmac_f16_e32 v26, 0x34f2, v29
	v_fmac_f16_e32 v33, 0x34f2, v30
	v_fmac_f16_e32 v14, 0x34f2, v30
	v_fmamk_f16 v21, v20, 0x3b9c, v25
	v_sub_f16_e32 v28, v22, v18
	v_sub_f16_e32 v29, v16, v17
	v_fmamk_f16 v30, v19, 0xbb9c, v15
	v_sub_f16_e32 v22, v18, v22
	v_sub_f16_e32 v35, v17, v16
	v_fmac_f16_e32 v15, 0x3b9c, v19
	v_fmac_f16_e32 v25, 0xbb9c, v20
	v_and_b32_e32 v13, 1, v13
	v_fmac_f16_e32 v21, 0x38b4, v19
	v_add_f16_e32 v28, v29, v28
	v_fmac_f16_e32 v30, 0x38b4, v20
	v_add_f16_e32 v22, v35, v22
	v_fmac_f16_e32 v15, 0xb8b4, v20
	v_add_f16_e32 v18, v18, v23
	v_fmac_f16_e32 v25, 0xb8b4, v19
	v_cmp_eq_u32_e64 s0, 1, v13
	v_fmac_f16_e32 v21, 0x34f2, v28
	v_fmac_f16_e32 v30, 0x34f2, v22
	v_fmac_f16_e32 v15, 0x34f2, v22
	v_add_f16_e32 v17, v17, v18
	v_fmac_f16_e32 v25, 0x34f2, v28
	v_cndmask_b32_e64 v13, 0, 0x384, s0
	v_mul_f16_e32 v18, 0xb8b4, v21
	v_mul_f16_e32 v19, 0xbb9c, v30
	;; [unrolled: 1-line block ×4, first 2 shown]
	v_add_f16_e32 v16, v16, v17
	v_mul_f16_e32 v17, 0xb8b4, v25
	v_fmac_f16_e32 v18, 0x3a79, v27
	v_fmac_f16_e32 v19, 0x34f2, v33
	v_fmac_f16_e32 v20, 0xb4f2, v14
	v_add_f16_e32 v22, v24, v5
	v_fmac_f16_e32 v15, 0x3b9c, v14
	v_sub_f16_e32 v14, v5, v24
	v_lshlrev_b32_e32 v5, 1, v13
	v_fmac_f16_e32 v17, 0xba79, v26
	v_add_f16_e32 v23, v36, v18
	v_add_f16_e32 v28, v34, v19
	;; [unrolled: 1-line block ×3, first 2 shown]
	v_mul_f16_e32 v27, 0x38b4, v27
	v_sub_f16_e32 v13, v36, v18
	v_sub_f16_e32 v18, v34, v19
	;; [unrolled: 1-line block ×3, first 2 shown]
	v_mul_u32_u24_e32 v19, 10, v9
	v_add_nc_u32_e32 v20, 0, v5
	v_add_f16_e32 v35, v0, v17
	v_sub_f16_e32 v0, v0, v17
	v_fmac_f16_e32 v27, 0x3a79, v21
	v_add_f16_e32 v21, v16, v6
	v_sub_f16_e32 v24, v6, v16
	v_lshl_add_u32 v19, v19, 1, v20
	v_pack_b32_f16 v6, v28, v29
	v_pack_b32_f16 v16, v22, v23
	;; [unrolled: 1-line block ×5, first 2 shown]
	s_load_dwordx2 s[4:5], s[4:5], 0x0
	ds_write2_b32 v19, v16, v6 offset1:1
	ds_write2_b32 v19, v14, v13 offset0:2 offset1:3
	ds_write_b32 v19, v0 offset:16
	v_and_b32_e32 v0, 0xff, v9
	v_mul_f16_e32 v33, 0x3b9c, v33
	v_mul_f16_e32 v25, 0xba79, v25
	v_mov_b32_e32 v18, 9
	v_add_f16_e32 v38, v7, v15
	v_mul_lo_u16 v0, 0xcd, v0
	v_fmac_f16_e32 v33, 0x34f2, v30
	v_fmac_f16_e32 v25, 0x38b4, v26
	v_add_f16_e32 v26, v31, v27
	v_sub_f16_e32 v7, v7, v15
	v_lshrrev_b16 v0, 11, v0
	v_add_f16_e32 v30, v32, v33
	v_sub_f16_e32 v8, v37, v25
	v_add_f16_e32 v39, v37, v25
	v_sub_f16_e32 v27, v31, v27
	v_mul_lo_u16 v13, v0, 10
	v_sub_f16_e32 v31, v32, v33
	v_lshl_add_u32 v17, v9, 1, v20
	v_lshl_add_u32 v16, v11, 1, v20
	;; [unrolled: 1-line block ×3, first 2 shown]
	v_sub_nc_u16 v13, v9, v13
	v_lshl_add_u32 v14, v10, 1, v20
	v_mad_i32_i24 v6, 0xffffffee, v9, v19
	v_pack_b32_f16 v20, v30, v38
	v_pack_b32_f16 v21, v21, v26
	v_mul_u32_u24_sdwa v18, v13, v18 dst_sel:DWORD dst_unused:UNUSED_PAD src0_sel:BYTE_0 src1_sel:DWORD
	v_pack_b32_f16 v7, v7, v8
	v_pack_b32_f16 v22, v27, v31
	;; [unrolled: 1-line block ×3, first 2 shown]
	s_waitcnt lgkmcnt(0)
	v_lshlrev_b32_e32 v8, 2, v18
	s_barrier
	buffer_gl0_inv
	ds_read_u16 v28, v17
	ds_read_u16 v29, v16
	;; [unrolled: 1-line block ×4, first 2 shown]
	ds_read_u16 v37, v6 offset:720
	ds_read_u16 v40, v6 offset:900
	;; [unrolled: 1-line block ×6, first 2 shown]
	s_waitcnt lgkmcnt(0)
	s_barrier
	buffer_gl0_inv
	ds_write2_b32 v19, v21, v20 offset1:1
	ds_write2_b32 v19, v23, v22 offset0:2 offset1:3
	ds_write_b32 v19, v7 offset:16
	s_waitcnt lgkmcnt(0)
	s_barrier
	buffer_gl0_inv
	s_clause 0x2
	global_load_dwordx4 v[18:21], v8, s[8:9]
	global_load_dwordx4 v[22:25], v8, s[8:9] offset:16
	global_load_dword v26, v8, s[8:9] offset:32
	v_and_b32_e32 v0, 0xffff, v0
	v_mov_b32_e32 v7, 1
	ds_read_u16 v27, v16
	ds_read_u16 v31, v15
	;; [unrolled: 1-line block ×3, first 2 shown]
	ds_read_u16 v39, v6 offset:720
	v_mad_u32_u24 v0, 0xc8, v0, 0
	v_lshlrev_b32_sdwa v7, v7, v13 dst_sel:DWORD dst_unused:UNUSED_PAD src0_sel:DWORD src1_sel:BYTE_0
	ds_read_u16 v47, v6 offset:900
	ds_read_u16 v48, v6 offset:1080
	;; [unrolled: 1-line block ×3, first 2 shown]
	v_cmp_gt_u32_e64 s0, 30, v9
	v_add3_u32 v7, v0, v7, v5
	ds_read_u16 v0, v6 offset:1440
	ds_read_u16 v8, v17
	ds_read_u16 v50, v6 offset:1620
	s_waitcnt vmcnt(0) lgkmcnt(0)
	s_barrier
	buffer_gl0_inv
	v_mul_f16_sdwa v41, v31, v19 dst_sel:DWORD dst_unused:UNUSED_PAD src0_sel:DWORD src1_sel:WORD_1
	v_mul_f16_sdwa v35, v32, v19 dst_sel:DWORD dst_unused:UNUSED_PAD src0_sel:DWORD src1_sel:WORD_1
	;; [unrolled: 1-line block ×18, first 2 shown]
	v_fmac_f16_e32 v41, v32, v19
	v_fma_f16 v35, v31, v19, -v35
	v_fmac_f16_e32 v51, v33, v20
	v_fmac_f16_e32 v34, v37, v21
	;; [unrolled: 1-line block ×3, first 2 shown]
	v_fma_f16 v32, v47, v22, -v55
	v_fmac_f16_e32 v36, v42, v23
	v_fmac_f16_e32 v57, v43, v24
	v_fma_f16 v31, v49, v24, -v58
	v_fmac_f16_e32 v45, v44, v25
	v_fmac_f16_e32 v60, v46, v26
	v_fmac_f16_e32 v13, v29, v18
	v_fma_f16 v33, v38, v20, -v52
	v_fma_f16 v29, v50, v26, -v61
	;; [unrolled: 1-line block ×6, first 2 shown]
	v_sub_f16_e32 v21, v41, v34
	v_sub_f16_e32 v22, v45, v36
	;; [unrolled: 1-line block ×6, first 2 shown]
	v_add_f16_e32 v48, v32, v31
	v_add_f16_e32 v56, v33, v29
	;; [unrolled: 1-line block ×8, first 2 shown]
	v_sub_f16_e32 v46, v54, v51
	v_sub_f16_e32 v51, v51, v60
	v_add_f16_e32 v21, v21, v22
	v_add_f16_e32 v22, v24, v25
	;; [unrolled: 1-line block ×3, first 2 shown]
	v_fma_f16 v42, -0.5, v48, v30
	v_sub_f16_e32 v47, v57, v60
	v_sub_f16_e32 v52, v54, v57
	v_fma_f16 v43, -0.5, v56, v30
	v_sub_f16_e32 v20, v37, v38
	v_sub_f16_e32 v49, v33, v29
	;; [unrolled: 1-line block ×4, first 2 shown]
	v_add_f16_e32 v0, v0, v34
	v_fma_f16 v18, -0.5, v18, v28
	v_fmac_f16_e32 v28, -0.5, v23
	v_add_f16_e32 v23, v26, v54
	v_fma_f16 v39, -0.5, v27, v13
	v_fmamk_f16 v48, v51, 0x3b9c, v42
	v_sub_f16_e32 v19, v35, v40
	v_sub_f16_e32 v50, v32, v31
	;; [unrolled: 1-line block ×4, first 2 shown]
	v_fmac_f16_e32 v13, -0.5, v44
	v_add_f16_e32 v25, v46, v47
	v_fmamk_f16 v47, v52, 0xbb9c, v43
	v_fmac_f16_e32 v43, 0x3b9c, v52
	v_fmac_f16_e32 v42, 0xbb9c, v51
	v_add_f16_e32 v26, v53, v55
	v_add_f16_e32 v0, v0, v36
	v_fmamk_f16 v54, v20, 0x3b9c, v28
	v_fmac_f16_e32 v28, 0xbb9c, v20
	v_add_f16_e32 v23, v23, v57
	v_fmamk_f16 v44, v49, 0xbb9c, v39
	v_fmac_f16_e32 v48, 0x38b4, v52
	;; [unrolled: 3-line block ×3, first 2 shown]
	v_fmamk_f16 v46, v50, 0x3b9c, v13
	v_fmac_f16_e32 v47, 0x38b4, v51
	v_fmac_f16_e32 v13, 0xbb9c, v50
	;; [unrolled: 1-line block ×5, first 2 shown]
	v_add_f16_e32 v0, v0, v45
	v_fmac_f16_e32 v54, 0xb8b4, v19
	v_fmac_f16_e32 v28, 0x38b4, v19
	v_add_f16_e32 v19, v23, v60
	v_fmac_f16_e32 v44, 0xb8b4, v50
	v_fmac_f16_e32 v48, 0x34f2, v26
	;; [unrolled: 1-line block ×11, first 2 shown]
	v_add_f16_e32 v20, v0, v19
	v_sub_f16_e32 v0, v0, v19
	v_mul_f16_e32 v19, 0xb8b4, v48
	v_fmac_f16_e32 v53, 0x34f2, v21
	v_fmac_f16_e32 v18, 0x34f2, v21
	v_fmac_f16_e32 v46, 0x34f2, v25
	v_mul_f16_e32 v21, 0xbb9c, v47
	v_fmac_f16_e32 v54, 0x34f2, v22
	v_fmac_f16_e32 v28, 0x34f2, v22
	;; [unrolled: 1-line block ×3, first 2 shown]
	v_mul_f16_e32 v22, 0xbb9c, v43
	v_fmac_f16_e32 v39, 0x34f2, v24
	v_mul_f16_e32 v23, 0xb8b4, v42
	v_fmac_f16_e32 v19, 0x3a79, v44
	v_fmac_f16_e32 v21, 0x34f2, v46
	;; [unrolled: 1-line block ×3, first 2 shown]
	ds_write_b16 v7, v20
	v_fmac_f16_e32 v23, 0xba79, v39
	v_add_f16_e32 v20, v53, v19
	v_add_f16_e32 v24, v54, v21
	;; [unrolled: 1-line block ×3, first 2 shown]
	v_sub_f16_e32 v19, v53, v19
	v_add_f16_e32 v26, v18, v23
	v_sub_f16_e32 v21, v54, v21
	v_sub_f16_e32 v22, v28, v22
	ds_write_b16 v7, v0 offset:100
	v_sub_f16_e32 v0, v18, v23
	ds_write_b16 v7, v20 offset:20
	ds_write_b16 v7, v24 offset:40
	;; [unrolled: 1-line block ×8, first 2 shown]
	s_waitcnt lgkmcnt(0)
	s_barrier
	buffer_gl0_inv
	ds_read_u16 v18, v17
	ds_read_u16 v20, v16
	ds_read_u16 v22, v6 offset:1380
	ds_read_u16 v27, v6 offset:1200
	;; [unrolled: 1-line block ×5, first 2 shown]
	ds_read_u16 v21, v15
	ds_read_u16 v23, v6 offset:1560
                                        ; implicit-def: $vgpr24
                                        ; implicit-def: $vgpr25
	s_and_saveexec_b32 s1, s0
	s_cbranch_execz .LBB0_15
; %bb.14:
	ds_read_u16 v0, v14
	ds_read_u16 v25, v6 offset:1140
	ds_read_u16 v24, v6 offset:1740
.LBB0_15:
	s_or_b32 exec_lo, exec_lo, s1
	v_add_f16_e32 v50, v37, v38
	v_add_f16_e32 v51, v35, v40
	;; [unrolled: 1-line block ×3, first 2 shown]
	v_sub_f16_e32 v34, v34, v36
	v_add_f16_e32 v30, v30, v33
	v_fma_f16 v50, -0.5, v50, v8
	v_fmac_f16_e32 v8, -0.5, v51
	v_sub_f16_e32 v41, v41, v45
	v_add_f16_e32 v49, v49, v37
	v_sub_f16_e32 v45, v35, v37
	v_sub_f16_e32 v35, v37, v35
	v_fmamk_f16 v51, v34, 0xbb9c, v8
	v_sub_f16_e32 v37, v38, v40
	v_fmac_f16_e32 v8, 0x3b9c, v34
	v_add_f16_e32 v30, v30, v32
	v_sub_f16_e32 v52, v40, v38
	v_add_f16_e32 v36, v49, v38
	v_fmamk_f16 v49, v41, 0x3b9c, v50
	v_fmac_f16_e32 v51, 0x38b4, v41
	v_add_f16_e32 v33, v35, v37
	v_fmac_f16_e32 v8, 0xb8b4, v41
	v_fmac_f16_e32 v50, 0xbb9c, v41
	v_add_f16_e32 v30, v30, v31
	v_add_f16_e32 v45, v45, v52
	v_fmac_f16_e32 v49, 0x38b4, v34
	v_mul_f16_e32 v31, 0x3a79, v48
	v_mul_f16_e32 v32, 0x34f2, v47
	v_fmac_f16_e32 v51, 0x34f2, v33
	v_fmac_f16_e32 v8, 0x34f2, v33
	v_mul_f16_e32 v33, 0x34f2, v43
	v_fmac_f16_e32 v50, 0xb8b4, v34
	v_mul_f16_e32 v34, 0x3a79, v42
	v_add_f16_e32 v36, v36, v40
	v_add_f16_e32 v29, v30, v29
	v_fmac_f16_e32 v49, 0x34f2, v45
	v_fmac_f16_e32 v31, 0x38b4, v44
	;; [unrolled: 1-line block ×3, first 2 shown]
	v_fma_f16 v13, v13, 0x3b9c, -v33
	v_fmac_f16_e32 v50, 0x34f2, v45
	v_fma_f16 v30, v39, 0x38b4, -v34
	v_add_f16_e32 v33, v36, v29
	v_add_f16_e32 v34, v49, v31
	;; [unrolled: 1-line block ×5, first 2 shown]
	v_sub_f16_e32 v29, v36, v29
	v_sub_f16_e32 v31, v49, v31
	;; [unrolled: 1-line block ×5, first 2 shown]
	s_waitcnt lgkmcnt(0)
	s_barrier
	buffer_gl0_inv
	ds_write_b16 v7, v33
	ds_write_b16 v7, v34 offset:20
	ds_write_b16 v7, v35 offset:40
	;; [unrolled: 1-line block ×9, first 2 shown]
	s_waitcnt lgkmcnt(0)
	s_barrier
	buffer_gl0_inv
	ds_read_u16 v31, v17
	ds_read_u16 v32, v16
	ds_read_u16 v37, v6 offset:780
	ds_read_u16 v30, v6 offset:1380
	;; [unrolled: 1-line block ×5, first 2 shown]
	ds_read_u16 v33, v15
	ds_read_u16 v35, v6 offset:1560
                                        ; implicit-def: $vgpr36
                                        ; implicit-def: $vgpr38
	s_and_saveexec_b32 s1, s0
	s_cbranch_execz .LBB0_17
; %bb.16:
	ds_read_u16 v13, v14
	ds_read_u16 v38, v6 offset:1140
	ds_read_u16 v36, v6 offset:1740
.LBB0_17:
	s_or_b32 exec_lo, exec_lo, s1
	v_lshrrev_b16 v34, 2, v12
	v_mov_b32_e32 v40, 0x147b
	v_add_nc_u32_e32 v7, -10, v9
	v_cmp_gt_u32_e64 s1, 10, v9
	v_lshrrev_b16 v45, 2, v10
	v_lshlrev_b32_e32 v42, 1, v9
	v_mul_u32_u24_sdwa v34, v34, v40 dst_sel:DWORD dst_unused:UNUSED_PAD src0_sel:WORD_0 src1_sel:DWORD
	v_mov_b32_e32 v43, 0
	v_cndmask_b32_e64 v44, v7, v11, s1
	v_mov_b32_e32 v48, 3
	v_mov_b32_e32 v53, 1
	v_lshrrev_b32_e32 v47, 17, v34
	v_mul_u32_u24_sdwa v34, v45, v40 dst_sel:DWORD dst_unused:UNUSED_PAD src0_sel:WORD_0 src1_sel:DWORD
	v_lshlrev_b64 v[7:8], 2, v[42:43]
	v_lshlrev_b32_e32 v42, 1, v44
	v_mul_lo_u16 v40, 0x64, v47
	v_lshrrev_b32_e32 v34, 17, v34
	v_lshlrev_b64 v[43:44], 2, v[42:43]
	v_add_co_u32 v7, s1, s8, v7
	v_mul_lo_u16 v34, 0x64, v34
	v_add_co_ci_u32_e64 v8, s1, s9, v8, s1
	v_add_co_u32 v43, s1, s8, v43
	v_sub_nc_u16 v49, v12, v40
	v_add_co_ci_u32_e64 v44, s1, s9, v44, s1
	v_sub_nc_u16 v34, v10, v34
	global_load_dwordx2 v[45:46], v[7:8], off offset:360
	v_lshlrev_b32_sdwa v40, v48, v49 dst_sel:DWORD dst_unused:UNUSED_PAD src0_sel:DWORD src1_sel:WORD_0
	global_load_dwordx2 v[54:55], v[43:44], off offset:360
	v_cmp_lt_u32_e64 s1, 9, v9
	v_lshlrev_b32_sdwa v43, v48, v34 dst_sel:DWORD dst_unused:UNUSED_PAD src0_sel:DWORD src1_sel:WORD_0
	s_clause 0x1
	global_load_dwordx2 v[56:57], v40, s[8:9] offset:360
	global_load_dwordx2 v[58:59], v43, s[8:9] offset:360
	v_cndmask_b32_e64 v40, 0, 0x258, s1
	v_lshlrev_b32_sdwa v43, v53, v49 dst_sel:DWORD dst_unused:UNUSED_PAD src0_sel:DWORD src1_sel:WORD_0
	s_waitcnt vmcnt(0) lgkmcnt(0)
	s_barrier
	buffer_gl0_inv
	v_add_nc_u32_e32 v40, 0, v40
	v_add3_u32 v40, v40, v42, v5
	v_mad_u32_u24 v42, 0x258, v47, 0
	v_add3_u32 v42, v42, v43, v5
	v_mul_f16_sdwa v47, v41, v45 dst_sel:DWORD dst_unused:UNUSED_PAD src0_sel:DWORD src1_sel:WORD_1
	v_mul_f16_sdwa v44, v28, v45 dst_sel:DWORD dst_unused:UNUSED_PAD src0_sel:DWORD src1_sel:WORD_1
	;; [unrolled: 1-line block ×4, first 2 shown]
	v_fmac_f16_e32 v47, v28, v45
	v_fma_f16 v50, v41, v45, -v44
	v_fmac_f16_e32 v49, v27, v46
	v_fma_f16 v45, v39, v46, -v48
	v_mul_f16_sdwa v46, v37, v54 dst_sel:DWORD dst_unused:UNUSED_PAD src0_sel:DWORD src1_sel:WORD_1
	v_mul_f16_sdwa v48, v30, v55 dst_sel:DWORD dst_unused:UNUSED_PAD src0_sel:DWORD src1_sel:WORD_1
	;; [unrolled: 1-line block ×8, first 2 shown]
	v_add_f16_e32 v61, v47, v49
	v_mul_f16_sdwa v63, v19, v56 dst_sel:DWORD dst_unused:UNUSED_PAD src0_sel:DWORD src1_sel:WORD_1
	v_mul_f16_sdwa v65, v25, v58 dst_sel:DWORD dst_unused:UNUSED_PAD src0_sel:DWORD src1_sel:WORD_1
	;; [unrolled: 1-line block ×3, first 2 shown]
	v_fmac_f16_e32 v46, v26, v54
	v_fmac_f16_e32 v48, v22, v55
	;; [unrolled: 1-line block ×4, first 2 shown]
	v_add_f16_e32 v60, v18, v47
	v_mul_f16_sdwa v64, v23, v57 dst_sel:DWORD dst_unused:UNUSED_PAD src0_sel:DWORD src1_sel:WORD_1
	v_fmac_f16_e32 v39, v19, v56
	v_fmac_f16_e32 v43, v23, v57
	v_sub_f16_e32 v62, v50, v45
	v_fma_f16 v52, v37, v54, -v27
	v_fma_f16 v51, v30, v55, -v28
	v_fmac_f16_e32 v18, -0.5, v61
	v_fma_f16 v37, v29, v56, -v63
	v_fma_f16 v38, v38, v58, -v65
	;; [unrolled: 1-line block ×3, first 2 shown]
	v_add_f16_e32 v24, v46, v48
	v_add_f16_e32 v29, v41, v44
	;; [unrolled: 1-line block ×3, first 2 shown]
	v_fma_f16 v35, v35, v57, -v64
	v_add_f16_e32 v23, v20, v46
	v_add_f16_e32 v26, v39, v43
	v_fmamk_f16 v19, v62, 0xbaee, v18
	v_sub_f16_e32 v25, v52, v51
	v_add_f16_e32 v28, v0, v41
	v_sub_f16_e32 v30, v38, v36
	v_fmac_f16_e32 v20, -0.5, v24
	v_fmac_f16_e32 v0, -0.5, v29
	v_fmac_f16_e32 v18, 0x3aee, v62
	ds_write_b16 v6, v22
	v_add_f16_e32 v22, v21, v39
	v_sub_f16_e32 v27, v37, v35
	v_add_f16_e32 v23, v23, v48
	v_fmac_f16_e32 v21, -0.5, v26
	ds_write_b16 v6, v19 offset:200
	ds_write_b16 v6, v18 offset:400
	v_add_f16_e32 v18, v28, v44
	v_fmamk_f16 v24, v25, 0xbaee, v20
	v_fmamk_f16 v19, v30, 0xbaee, v0
	v_fmac_f16_e32 v0, 0x3aee, v30
	v_fmac_f16_e32 v20, 0x3aee, v25
	v_add_f16_e32 v22, v22, v43
	ds_write_b16 v40, v23
	v_fmamk_f16 v23, v27, 0xbaee, v21
	v_fmac_f16_e32 v21, 0x3aee, v27
	ds_write_b16 v40, v24 offset:200
	ds_write_b16 v40, v20 offset:400
	ds_write_b16 v42, v22
	ds_write_b16 v42, v23 offset:200
	ds_write_b16 v42, v21 offset:400
	s_and_saveexec_b32 s1, s0
	s_cbranch_execz .LBB0_19
; %bb.18:
	v_lshlrev_b32_sdwa v20, v53, v34 dst_sel:DWORD dst_unused:UNUSED_PAD src0_sel:DWORD src1_sel:WORD_0
	v_add3_u32 v20, 0, v20, v5
	ds_write_b16 v20, v18 offset:1200
	ds_write_b16 v20, v19 offset:1400
	;; [unrolled: 1-line block ×3, first 2 shown]
.LBB0_19:
	s_or_b32 exec_lo, exec_lo, s1
	s_waitcnt lgkmcnt(0)
	s_barrier
	buffer_gl0_inv
	ds_read_u16 v22, v17
	ds_read_u16 v23, v16
	ds_read_u16 v26, v6 offset:780
	ds_read_u16 v27, v6 offset:1380
	;; [unrolled: 1-line block ×5, first 2 shown]
	ds_read_u16 v25, v15
	ds_read_u16 v30, v6 offset:1560
	s_and_saveexec_b32 s1, s0
	s_cbranch_execz .LBB0_21
; %bb.20:
	ds_read_u16 v18, v14
	ds_read_u16 v19, v6 offset:1140
	ds_read_u16 v0, v6 offset:1740
.LBB0_21:
	s_or_b32 exec_lo, exec_lo, s1
	v_add_f16_e32 v20, v50, v45
	v_add_f16_e32 v21, v31, v50
	v_sub_f16_e32 v47, v47, v49
	v_sub_f16_e32 v46, v46, v48
	v_add_f16_e32 v49, v52, v51
	v_fmac_f16_e32 v31, -0.5, v20
	v_add_f16_e32 v20, v32, v52
	v_add_f16_e32 v45, v21, v45
	;; [unrolled: 1-line block ×4, first 2 shown]
	v_fmamk_f16 v48, v47, 0x3aee, v31
	v_fmac_f16_e32 v31, 0xbaee, v47
	v_add_f16_e32 v47, v20, v51
	v_add_f16_e32 v20, v37, v35
	;; [unrolled: 1-line block ×3, first 2 shown]
	v_fmac_f16_e32 v13, -0.5, v21
	v_fmac_f16_e32 v32, -0.5, v49
	s_waitcnt lgkmcnt(0)
	v_fmac_f16_e32 v33, -0.5, v20
	v_sub_f16_e32 v20, v39, v43
	v_sub_f16_e32 v39, v41, v44
	v_add_f16_e32 v35, v37, v35
	v_fmamk_f16 v49, v46, 0x3aee, v32
	v_fmac_f16_e32 v32, 0xbaee, v46
	v_fmamk_f16 v37, v20, 0x3aee, v33
	v_fmac_f16_e32 v33, 0xbaee, v20
	v_add_f16_e32 v20, v38, v36
	v_fmamk_f16 v21, v39, 0x3aee, v13
	v_fmac_f16_e32 v13, 0xbaee, v39
	s_barrier
	buffer_gl0_inv
	ds_write_b16 v6, v45
	ds_write_b16 v6, v48 offset:200
	ds_write_b16 v6, v31 offset:400
	ds_write_b16 v40, v47
	ds_write_b16 v40, v49 offset:200
	ds_write_b16 v40, v32 offset:400
	;; [unrolled: 3-line block ×3, first 2 shown]
	s_and_saveexec_b32 s1, s0
	s_cbranch_execz .LBB0_23
; %bb.22:
	v_mov_b32_e32 v31, 1
	v_lshlrev_b32_sdwa v31, v31, v34 dst_sel:DWORD dst_unused:UNUSED_PAD src0_sel:DWORD src1_sel:WORD_0
	v_add3_u32 v5, 0, v31, v5
	ds_write_b16 v5, v20 offset:1200
	ds_write_b16 v5, v21 offset:1400
	;; [unrolled: 1-line block ×3, first 2 shown]
.LBB0_23:
	s_or_b32 exec_lo, exec_lo, s1
	s_waitcnt lgkmcnt(0)
	s_barrier
	buffer_gl0_inv
	ds_read_u16 v17, v17
	ds_read_u16 v16, v16
	ds_read_u16 v32, v6 offset:780
	ds_read_u16 v33, v6 offset:1380
	;; [unrolled: 1-line block ×5, first 2 shown]
	ds_read_u16 v15, v15
	ds_read_u16 v36, v6 offset:1560
	s_and_saveexec_b32 s1, s0
	s_cbranch_execz .LBB0_25
; %bb.24:
	ds_read_u16 v20, v14
	ds_read_u16 v21, v6 offset:1140
	ds_read_u16 v13, v6 offset:1740
.LBB0_25:
	s_or_b32 exec_lo, exec_lo, s1
	s_and_saveexec_b32 s1, vcc_lo
	s_cbranch_execz .LBB0_28
; %bb.26:
	v_lshlrev_b32_e32 v5, 1, v12
	v_mov_b32_e32 v6, 0
	v_mul_hi_u32 v40, 0x1b4e81b5, v9
	v_add_nc_u32_e32 v41, 0x5a, v9
	v_add_nc_u32_e32 v42, 0xb4, v9
	v_mul_lo_u32 v14, s5, v3
	v_lshlrev_b64 v[37:38], 2, v[5:6]
	v_lshlrev_b32_e32 v5, 1, v11
	v_mul_lo_u32 v39, s4, v4
	v_mul_hi_u32 v43, 0x1b4e81b5, v41
	v_mul_hi_u32 v44, 0x1b4e81b5, v42
	v_lshrrev_b32_e32 v40, 5, v40
	v_add_co_u32 v11, vcc_lo, s8, v37
	v_add_co_ci_u32_e32 v12, vcc_lo, s9, v38, vcc_lo
	v_lshlrev_b64 v[37:38], 2, v[5:6]
	v_mad_u64_u32 v[4:5], null, s4, v3, 0
	global_load_dwordx2 v[11:12], v[11:12], off offset:1160
	v_lshrrev_b32_e32 v43, 5, v43
	v_lshrrev_b32_e32 v44, 5, v44
	v_add_co_u32 v37, vcc_lo, s8, v37
	v_add_co_ci_u32_e32 v38, vcc_lo, s9, v38, vcc_lo
	s_clause 0x1
	global_load_dwordx2 v[37:38], v[37:38], off offset:1160
	global_load_dwordx2 v[7:8], v[7:8], off offset:1160
	v_add3_u32 v5, v5, v39, v14
	v_mul_u32_u24_e32 v14, 0x12c, v40
	v_mul_u32_u24_e32 v39, 0x12c, v43
	;; [unrolled: 1-line block ×3, first 2 shown]
	v_lshlrev_b64 v[1:2], 2, v[1:2]
	v_lshlrev_b64 v[4:5], 2, v[4:5]
	v_sub_nc_u32_e32 v14, v9, v14
	v_sub_nc_u32_e32 v41, v41, v39
	;; [unrolled: 1-line block ×3, first 2 shown]
	v_add_nc_u32_e32 v3, 0x10e, v9
	v_add_nc_u32_e32 v56, 0x12c, v14
	;; [unrolled: 1-line block ×3, first 2 shown]
	v_add_co_u32 v45, s1, s14, v4
	v_add_co_ci_u32_e64 v46, s1, s15, v5, s1
	v_mad_u64_u32 v[4:5], null, s2, v14, 0
	v_mad_u64_u32 v[39:40], null, s2, v56, 0
	v_mad_u32_u24 v59, 0x384, v43, v41
	v_mad_u64_u32 v[41:42], null, s2, v58, 0
	v_mad_u32_u24 v60, 0x384, v44, v47
	v_add_co_u32 v1, s1, v45, v1
	v_add_co_ci_u32_e64 v2, s1, v46, v2, s1
	v_mad_u64_u32 v[43:44], null, s2, v59, 0
	v_add_nc_u32_e32 v61, 0x12c, v59
	v_mad_u64_u32 v[45:46], null, s2, v60, 0
	v_add_nc_u32_e32 v63, 0x12c, v60
	v_add_nc_u32_e32 v62, 0x258, v59
	;; [unrolled: 1-line block ×3, first 2 shown]
	v_mad_u64_u32 v[47:48], null, s3, v14, v[5:6]
	v_mov_b32_e32 v5, v40
	v_mov_b32_e32 v14, v42
	v_mad_u64_u32 v[48:49], null, s2, v61, 0
	v_mad_u64_u32 v[52:53], null, s2, v63, 0
	;; [unrolled: 1-line block ×5, first 2 shown]
	v_mov_b32_e32 v40, v44
	s_waitcnt lgkmcnt(1)
	v_mad_u64_u32 v[57:58], null, s3, v58, v[14:15]
	v_mov_b32_e32 v14, v46
	v_mov_b32_e32 v5, v47
	v_mad_u64_u32 v[46:47], null, s3, v59, v[40:41]
	v_mov_b32_e32 v44, v49
	v_mad_u64_u32 v[58:59], null, s3, v60, v[14:15]
	v_mov_b32_e32 v14, v53
	v_mov_b32_e32 v47, v51
	v_mov_b32_e32 v49, v55
	v_mov_b32_e32 v40, v56
	v_mad_u64_u32 v[55:56], null, s3, v61, v[44:45]
	v_mad_u64_u32 v[59:60], null, s3, v63, v[14:15]
	v_mov_b32_e32 v42, v57
	v_mad_u64_u32 v[56:57], null, s3, v62, v[47:48]
	v_mad_u64_u32 v[60:61], null, s3, v64, v[49:50]
	v_mov_b32_e32 v49, v55
	v_mov_b32_e32 v53, v59
	v_lshlrev_b64 v[4:5], 2, v[4:5]
	v_mov_b32_e32 v44, v46
	v_mov_b32_e32 v51, v56
	v_lshlrev_b64 v[47:48], 2, v[48:49]
	;; [unrolled: 3-line block ×3, first 2 shown]
	v_lshlrev_b64 v[49:50], 2, v[50:51]
	v_lshlrev_b64 v[51:52], 2, v[52:53]
	;; [unrolled: 1-line block ×4, first 2 shown]
	v_add_co_u32 v4, s1, v1, v4
	v_add_co_ci_u32_e64 v5, s1, v2, v5, s1
	v_lshlrev_b64 v[43:44], 2, v[43:44]
	v_add_co_u32 v39, s1, v1, v39
	v_add_co_ci_u32_e64 v40, s1, v2, v40, s1
	v_lshlrev_b64 v[45:46], 2, v[45:46]
	v_add_co_u32 v41, s1, v1, v41
	v_add_co_ci_u32_e64 v42, s1, v2, v42, s1
	v_add_co_u32 v43, s1, v1, v43
	v_add_co_ci_u32_e64 v44, s1, v2, v44, s1
	;; [unrolled: 2-line block ×5, first 2 shown]
	v_cmp_gt_u32_e32 vcc_lo, 0x12c, v3
	v_add_co_u32 v51, s1, v1, v51
	v_add_co_ci_u32_e64 v52, s1, v2, v52, s1
	v_add_co_u32 v53, s1, v1, v53
	v_add_co_ci_u32_e64 v54, s1, v2, v54, s1
	s_waitcnt vmcnt(2)
	v_mul_f16_sdwa v14, v29, v11 dst_sel:DWORD dst_unused:UNUSED_PAD src0_sel:DWORD src1_sel:WORD_1
	v_mul_f16_sdwa v55, v30, v12 dst_sel:DWORD dst_unused:UNUSED_PAD src0_sel:DWORD src1_sel:WORD_1
	;; [unrolled: 1-line block ×3, first 2 shown]
	s_waitcnt lgkmcnt(0)
	v_mul_f16_sdwa v57, v36, v12 dst_sel:DWORD dst_unused:UNUSED_PAD src0_sel:DWORD src1_sel:WORD_1
	v_fma_f16 v14, v35, v11, -v14
	v_fma_f16 v35, v36, v12, -v55
	v_fmac_f16_e32 v56, v29, v11
	v_fmac_f16_e32 v57, v30, v12
	s_waitcnt vmcnt(1)
	v_mul_f16_sdwa v11, v26, v37 dst_sel:DWORD dst_unused:UNUSED_PAD src0_sel:DWORD src1_sel:WORD_1
	v_mul_f16_sdwa v12, v27, v38 dst_sel:DWORD dst_unused:UNUSED_PAD src0_sel:DWORD src1_sel:WORD_1
	;; [unrolled: 1-line block ×4, first 2 shown]
	s_waitcnt vmcnt(0)
	v_mul_f16_sdwa v36, v28, v7 dst_sel:DWORD dst_unused:UNUSED_PAD src0_sel:DWORD src1_sel:WORD_1
	v_mul_f16_sdwa v55, v24, v8 dst_sel:DWORD dst_unused:UNUSED_PAD src0_sel:DWORD src1_sel:WORD_1
	;; [unrolled: 1-line block ×4, first 2 shown]
	v_add_f16_e32 v60, v14, v35
	v_add_f16_e32 v63, v56, v57
	v_fma_f16 v11, v32, v37, -v11
	v_fma_f16 v12, v33, v38, -v12
	v_fmac_f16_e32 v29, v26, v37
	v_fmac_f16_e32 v30, v27, v38
	v_fma_f16 v26, v34, v7, -v36
	v_fma_f16 v27, v31, v8, -v55
	v_fmac_f16_e32 v58, v28, v7
	v_fmac_f16_e32 v59, v24, v8
	v_add_f16_e32 v62, v15, v14
	v_sub_f16_e32 v61, v56, v57
	v_sub_f16_e32 v14, v14, v35
	v_add_f16_e32 v56, v25, v56
	v_fma_f16 v7, -0.5, v60, v15
	v_fma_f16 v15, -0.5, v63, v25
	v_add_f16_e32 v25, v11, v12
	v_add_f16_e32 v32, v29, v30
	;; [unrolled: 1-line block ×8, first 2 shown]
	v_sub_f16_e32 v28, v29, v30
	v_add_f16_e32 v31, v16, v11
	v_sub_f16_e32 v11, v11, v12
	v_add_f16_e32 v29, v23, v29
	v_sub_f16_e32 v34, v58, v59
	v_sub_f16_e32 v26, v26, v27
	v_fmamk_f16 v55, v14, 0x3aee, v15
	v_fmac_f16_e32 v15, 0xbaee, v14
	v_fma_f16 v14, -0.5, v25, v16
	v_fma_f16 v16, -0.5, v32, v23
	;; [unrolled: 1-line block ×4, first 2 shown]
	v_add_f16_e32 v25, v35, v27
	v_add_f16_e32 v27, v37, v59
	;; [unrolled: 1-line block ×3, first 2 shown]
	v_pack_b32_f16 v8, v24, v8
	v_fmamk_f16 v24, v28, 0xbaee, v14
	v_fmac_f16_e32 v14, 0x3aee, v28
	v_fmamk_f16 v28, v11, 0x3aee, v16
	v_fmac_f16_e32 v16, 0xbaee, v11
	;; [unrolled: 2-line block ×4, first 2 shown]
	v_add_f16_e32 v12, v31, v12
	v_pack_b32_f16 v25, v27, v25
	v_fmamk_f16 v38, v61, 0xbaee, v7
	v_fmac_f16_e32 v7, 0x3aee, v61
	v_pack_b32_f16 v17, v22, v17
	v_pack_b32_f16 v11, v29, v11
	;; [unrolled: 1-line block ×3, first 2 shown]
	global_store_dword v[4:5], v25, off
	v_pack_b32_f16 v4, v16, v14
	v_pack_b32_f16 v5, v28, v24
	;; [unrolled: 1-line block ×4, first 2 shown]
	global_store_dword v[39:40], v17, off
	global_store_dword v[41:42], v11, off
	;; [unrolled: 1-line block ×8, first 2 shown]
	s_and_b32 exec_lo, exec_lo, vcc_lo
	s_cbranch_execz .LBB0_28
; %bb.27:
	v_subrev_nc_u32_e32 v4, 30, v9
	v_add_nc_u32_e32 v12, 0x23a, v9
	v_add_nc_u32_e32 v17, 0x366, v9
	v_cndmask_b32_e64 v4, v4, v10, s0
	v_mad_u64_u32 v[8:9], null, s2, v12, 0
	v_mad_u64_u32 v[10:11], null, s2, v17, 0
	v_lshlrev_b32_e32 v5, 1, v4
	v_lshlrev_b64 v[4:5], 2, v[5:6]
	v_mad_u64_u32 v[6:7], null, s2, v3, 0
	v_add_co_u32 v4, vcc_lo, s8, v4
	v_add_co_ci_u32_e32 v5, vcc_lo, s9, v5, vcc_lo
	v_mad_u64_u32 v[14:15], null, s3, v3, v[7:8]
	v_mad_u64_u32 v[15:16], null, s3, v12, v[9:10]
	global_load_dwordx2 v[4:5], v[4:5], off offset:1160
	v_mad_u64_u32 v[11:12], null, s3, v17, v[11:12]
	v_mov_b32_e32 v7, v14
	v_mov_b32_e32 v9, v15
	v_lshlrev_b64 v[6:7], 2, v[6:7]
	v_lshlrev_b64 v[10:11], 2, v[10:11]
	;; [unrolled: 1-line block ×3, first 2 shown]
	v_add_co_u32 v6, vcc_lo, v1, v6
	v_add_co_ci_u32_e32 v7, vcc_lo, v2, v7, vcc_lo
	s_waitcnt vmcnt(0)
	v_mul_f16_sdwa v12, v21, v4 dst_sel:DWORD dst_unused:UNUSED_PAD src0_sel:DWORD src1_sel:WORD_1
	v_mul_f16_sdwa v3, v19, v4 dst_sel:DWORD dst_unused:UNUSED_PAD src0_sel:DWORD src1_sel:WORD_1
	;; [unrolled: 1-line block ×4, first 2 shown]
	v_fmac_f16_e32 v12, v19, v4
	v_fma_f16 v16, v21, v4, -v3
	v_fmac_f16_e32 v14, v0, v5
	v_fma_f16 v0, v13, v5, -v15
	v_add_co_u32 v3, vcc_lo, v1, v8
	v_add_co_ci_u32_e32 v4, vcc_lo, v2, v9, vcc_lo
	v_add_f16_e32 v5, v12, v14
	v_add_f16_e32 v9, v16, v0
	;; [unrolled: 1-line block ×4, first 2 shown]
	v_sub_f16_e32 v13, v16, v0
	v_fmac_f16_e32 v18, -0.5, v5
	v_sub_f16_e32 v5, v12, v14
	v_fmac_f16_e32 v20, -0.5, v9
	v_add_f16_e32 v8, v8, v14
	v_add_f16_e32 v9, v15, v0
	v_fmamk_f16 v12, v13, 0xbaee, v18
	v_fmac_f16_e32 v18, 0x3aee, v13
	v_fmamk_f16 v13, v5, 0x3aee, v20
	v_fmac_f16_e32 v20, 0xbaee, v5
	v_add_co_u32 v0, vcc_lo, v1, v10
	v_add_co_ci_u32_e32 v1, vcc_lo, v2, v11, vcc_lo
	v_pack_b32_f16 v2, v8, v9
	v_pack_b32_f16 v5, v12, v13
	;; [unrolled: 1-line block ×3, first 2 shown]
	global_store_dword v[6:7], v2, off
	global_store_dword v[3:4], v5, off
	;; [unrolled: 1-line block ×3, first 2 shown]
.LBB0_28:
	s_endpgm
	.section	.rodata,"a",@progbits
	.p2align	6, 0x0
	.amdhsa_kernel fft_rtc_back_len900_factors_10_10_3_3_wgs_180_tpt_90_halfLds_half_op_CI_CI_sbrr_dirReg
		.amdhsa_group_segment_fixed_size 0
		.amdhsa_private_segment_fixed_size 0
		.amdhsa_kernarg_size 104
		.amdhsa_user_sgpr_count 6
		.amdhsa_user_sgpr_private_segment_buffer 1
		.amdhsa_user_sgpr_dispatch_ptr 0
		.amdhsa_user_sgpr_queue_ptr 0
		.amdhsa_user_sgpr_kernarg_segment_ptr 1
		.amdhsa_user_sgpr_dispatch_id 0
		.amdhsa_user_sgpr_flat_scratch_init 0
		.amdhsa_user_sgpr_private_segment_size 0
		.amdhsa_wavefront_size32 1
		.amdhsa_uses_dynamic_stack 0
		.amdhsa_system_sgpr_private_segment_wavefront_offset 0
		.amdhsa_system_sgpr_workgroup_id_x 1
		.amdhsa_system_sgpr_workgroup_id_y 0
		.amdhsa_system_sgpr_workgroup_id_z 0
		.amdhsa_system_sgpr_workgroup_info 0
		.amdhsa_system_vgpr_workitem_id 0
		.amdhsa_next_free_vgpr 67
		.amdhsa_next_free_sgpr 31
		.amdhsa_reserve_vcc 1
		.amdhsa_reserve_flat_scratch 0
		.amdhsa_float_round_mode_32 0
		.amdhsa_float_round_mode_16_64 0
		.amdhsa_float_denorm_mode_32 3
		.amdhsa_float_denorm_mode_16_64 3
		.amdhsa_dx10_clamp 1
		.amdhsa_ieee_mode 1
		.amdhsa_fp16_overflow 0
		.amdhsa_workgroup_processor_mode 1
		.amdhsa_memory_ordered 1
		.amdhsa_forward_progress 0
		.amdhsa_shared_vgpr_count 0
		.amdhsa_exception_fp_ieee_invalid_op 0
		.amdhsa_exception_fp_denorm_src 0
		.amdhsa_exception_fp_ieee_div_zero 0
		.amdhsa_exception_fp_ieee_overflow 0
		.amdhsa_exception_fp_ieee_underflow 0
		.amdhsa_exception_fp_ieee_inexact 0
		.amdhsa_exception_int_div_zero 0
	.end_amdhsa_kernel
	.text
.Lfunc_end0:
	.size	fft_rtc_back_len900_factors_10_10_3_3_wgs_180_tpt_90_halfLds_half_op_CI_CI_sbrr_dirReg, .Lfunc_end0-fft_rtc_back_len900_factors_10_10_3_3_wgs_180_tpt_90_halfLds_half_op_CI_CI_sbrr_dirReg
                                        ; -- End function
	.section	.AMDGPU.csdata,"",@progbits
; Kernel info:
; codeLenInByte = 8124
; NumSgprs: 33
; NumVgprs: 67
; ScratchSize: 0
; MemoryBound: 0
; FloatMode: 240
; IeeeMode: 1
; LDSByteSize: 0 bytes/workgroup (compile time only)
; SGPRBlocks: 4
; VGPRBlocks: 8
; NumSGPRsForWavesPerEU: 33
; NumVGPRsForWavesPerEU: 67
; Occupancy: 12
; WaveLimiterHint : 1
; COMPUTE_PGM_RSRC2:SCRATCH_EN: 0
; COMPUTE_PGM_RSRC2:USER_SGPR: 6
; COMPUTE_PGM_RSRC2:TRAP_HANDLER: 0
; COMPUTE_PGM_RSRC2:TGID_X_EN: 1
; COMPUTE_PGM_RSRC2:TGID_Y_EN: 0
; COMPUTE_PGM_RSRC2:TGID_Z_EN: 0
; COMPUTE_PGM_RSRC2:TIDIG_COMP_CNT: 0
	.text
	.p2alignl 6, 3214868480
	.fill 48, 4, 3214868480
	.type	__hip_cuid_9517e35699362d89,@object ; @__hip_cuid_9517e35699362d89
	.section	.bss,"aw",@nobits
	.globl	__hip_cuid_9517e35699362d89
__hip_cuid_9517e35699362d89:
	.byte	0                               ; 0x0
	.size	__hip_cuid_9517e35699362d89, 1

	.ident	"AMD clang version 19.0.0git (https://github.com/RadeonOpenCompute/llvm-project roc-6.4.0 25133 c7fe45cf4b819c5991fe208aaa96edf142730f1d)"
	.section	".note.GNU-stack","",@progbits
	.addrsig
	.addrsig_sym __hip_cuid_9517e35699362d89
	.amdgpu_metadata
---
amdhsa.kernels:
  - .args:
      - .actual_access:  read_only
        .address_space:  global
        .offset:         0
        .size:           8
        .value_kind:     global_buffer
      - .offset:         8
        .size:           8
        .value_kind:     by_value
      - .actual_access:  read_only
        .address_space:  global
        .offset:         16
        .size:           8
        .value_kind:     global_buffer
      - .actual_access:  read_only
        .address_space:  global
        .offset:         24
        .size:           8
        .value_kind:     global_buffer
      - .actual_access:  read_only
        .address_space:  global
        .offset:         32
        .size:           8
        .value_kind:     global_buffer
      - .offset:         40
        .size:           8
        .value_kind:     by_value
      - .actual_access:  read_only
        .address_space:  global
        .offset:         48
        .size:           8
        .value_kind:     global_buffer
      - .actual_access:  read_only
        .address_space:  global
        .offset:         56
        .size:           8
        .value_kind:     global_buffer
      - .offset:         64
        .size:           4
        .value_kind:     by_value
      - .actual_access:  read_only
        .address_space:  global
        .offset:         72
        .size:           8
        .value_kind:     global_buffer
      - .actual_access:  read_only
        .address_space:  global
        .offset:         80
        .size:           8
        .value_kind:     global_buffer
      - .actual_access:  read_only
        .address_space:  global
        .offset:         88
        .size:           8
        .value_kind:     global_buffer
      - .actual_access:  write_only
        .address_space:  global
        .offset:         96
        .size:           8
        .value_kind:     global_buffer
    .group_segment_fixed_size: 0
    .kernarg_segment_align: 8
    .kernarg_segment_size: 104
    .language:       OpenCL C
    .language_version:
      - 2
      - 0
    .max_flat_workgroup_size: 180
    .name:           fft_rtc_back_len900_factors_10_10_3_3_wgs_180_tpt_90_halfLds_half_op_CI_CI_sbrr_dirReg
    .private_segment_fixed_size: 0
    .sgpr_count:     33
    .sgpr_spill_count: 0
    .symbol:         fft_rtc_back_len900_factors_10_10_3_3_wgs_180_tpt_90_halfLds_half_op_CI_CI_sbrr_dirReg.kd
    .uniform_work_group_size: 1
    .uses_dynamic_stack: false
    .vgpr_count:     67
    .vgpr_spill_count: 0
    .wavefront_size: 32
    .workgroup_processor_mode: 1
amdhsa.target:   amdgcn-amd-amdhsa--gfx1030
amdhsa.version:
  - 1
  - 2
...

	.end_amdgpu_metadata
